;; amdgpu-corpus repo=ROCm/rocFFT kind=compiled arch=gfx906 opt=O3
	.text
	.amdgcn_target "amdgcn-amd-amdhsa--gfx906"
	.amdhsa_code_object_version 6
	.protected	fft_rtc_back_len192_factors_8_3_8_wgs_192_tpt_24_dim3_dp_op_CI_CI_unitstride_sbrc_aligned_dirReg ; -- Begin function fft_rtc_back_len192_factors_8_3_8_wgs_192_tpt_24_dim3_dp_op_CI_CI_unitstride_sbrc_aligned_dirReg
	.globl	fft_rtc_back_len192_factors_8_3_8_wgs_192_tpt_24_dim3_dp_op_CI_CI_unitstride_sbrc_aligned_dirReg
	.p2align	8
	.type	fft_rtc_back_len192_factors_8_3_8_wgs_192_tpt_24_dim3_dp_op_CI_CI_unitstride_sbrc_aligned_dirReg,@function
fft_rtc_back_len192_factors_8_3_8_wgs_192_tpt_24_dim3_dp_op_CI_CI_unitstride_sbrc_aligned_dirReg: ; @fft_rtc_back_len192_factors_8_3_8_wgs_192_tpt_24_dim3_dp_op_CI_CI_unitstride_sbrc_aligned_dirReg
; %bb.0:
	s_load_dwordx8 s[8:15], s[4:5], 0x0
	s_load_dwordx2 s[20:21], s[4:5], 0x50
	s_mov_b32 s19, 0
	s_waitcnt lgkmcnt(0)
	s_load_dwordx4 s[0:3], s[10:11], 0x8
	s_waitcnt lgkmcnt(0)
	s_add_i32 s0, s0, -1
	s_lshr_b32 s7, s0, 3
	s_add_i32 s7, s7, 1
	v_cvt_f32_u32_e32 v1, s7
	s_sub_i32 s0, 0, s7
	v_rcp_iflag_f32_e32 v1, v1
	v_mul_f32_e32 v1, 0x4f7ffffe, v1
	v_cvt_u32_f32_e32 v3, v1
	v_mov_b32_e32 v1, s2
	v_mov_b32_e32 v2, s3
	v_readfirstlane_b32 s1, v3
	s_mul_i32 s0, s0, s1
	s_mul_hi_u32 s0, s1, s0
	s_add_i32 s1, s1, s0
	s_mul_hi_u32 s0, s6, s1
	s_mul_i32 s1, s0, s7
	s_sub_i32 s1, s6, s1
	s_add_i32 s3, s0, 1
	s_sub_i32 s10, s1, s7
	s_cmp_ge_u32 s1, s7
	s_cselect_b32 s0, s3, s0
	s_cselect_b32 s1, s10, s1
	s_add_i32 s3, s0, 1
	s_cmp_ge_u32 s1, s7
	s_cselect_b32 s18, s3, s0
	s_load_dwordx2 s[0:1], s[12:13], 0x8
	v_cmp_lt_u64_e32 vcc, s[18:19], v[1:2]
	s_mov_b64 s[16:17], s[18:19]
	s_cbranch_vccnz .LBB0_2
; %bb.1:
	v_cvt_f32_u32_e32 v1, s2
	s_waitcnt lgkmcnt(0)
	s_sub_i32 s1, 0, s2
	v_rcp_iflag_f32_e32 v1, v1
	v_mul_f32_e32 v1, 0x4f7ffffe, v1
	v_cvt_u32_f32_e32 v1, v1
	v_readfirstlane_b32 s3, v1
	s_mul_i32 s1, s1, s3
	s_mul_hi_u32 s1, s3, s1
	s_add_i32 s3, s3, s1
	s_mul_hi_u32 s1, s18, s3
	s_mul_i32 s1, s1, s2
	s_sub_i32 s1, s18, s1
	s_sub_i32 s3, s1, s2
	s_cmp_ge_u32 s1, s2
	s_cselect_b32 s1, s3, s1
	s_sub_i32 s3, s1, s2
	s_cmp_ge_u32 s1, s2
	s_cselect_b32 s16, s3, s1
.LBB0_2:
	s_waitcnt lgkmcnt(0)
	s_mul_i32 s1, s18, s7
	s_mul_i32 s7, s7, s2
	v_cvt_f32_u32_e32 v1, s7
	s_load_dwordx4 s[24:27], s[12:13], 0x10
	s_sub_i32 s1, s6, s1
	s_lshl_b32 s10, s1, 3
	v_rcp_iflag_f32_e32 v1, v1
	s_mul_i32 s18, s10, s0
	s_waitcnt lgkmcnt(0)
	s_mul_i32 s1, s25, s16
	s_mul_hi_u32 s2, s24, s16
	v_mul_f32_e32 v1, 0x4f7ffffe, v1
	v_cvt_u32_f32_e32 v1, v1
	s_add_i32 s3, s2, s1
	s_sub_i32 s1, 0, s7
	s_mul_i32 s2, s24, s16
	v_readfirstlane_b32 s11, v1
	s_mul_i32 s1, s1, s11
	s_mul_hi_u32 s1, s11, s1
	s_add_i32 s11, s11, s1
	s_mul_hi_u32 s1, s6, s11
	s_mul_i32 s11, s1, s7
	s_sub_i32 s6, s6, s11
	s_add_i32 s11, s1, 1
	s_sub_i32 s12, s6, s7
	s_cmp_ge_u32 s6, s7
	s_cselect_b32 s1, s11, s1
	s_cselect_b32 s6, s12, s6
	s_add_i32 s11, s1, 1
	s_cmp_ge_u32 s6, s7
	s_cselect_b32 s17, s11, s1
	s_mul_i32 s1, s27, s17
	s_mul_hi_u32 s6, s26, s17
	s_add_i32 s7, s6, s1
	s_mul_i32 s6, s26, s17
	s_lshl_b64 s[6:7], s[6:7], 4
	s_add_u32 s1, s20, s6
	v_mul_u32_u24_e32 v1, 0x156, v0
	s_addc_u32 s6, s21, s7
	s_lshl_b64 s[2:3], s[2:3], 4
	v_lshrrev_b32_e32 v41, 16, v1
	s_add_u32 s1, s1, s2
	v_mul_lo_u16_e32 v1, 0xc0, v41
	v_mul_lo_u32 v9, s0, v41
	s_addc_u32 s6, s6, s3
	s_lshl_b64 s[2:3], s[18:19], 4
	v_sub_u16_e32 v45, v0, v1
	s_add_u32 s1, s1, s2
	s_addc_u32 s2, s6, s3
	v_lshlrev_b32_e32 v1, 4, v45
	v_mov_b32_e32 v10, 0
	v_mov_b32_e32 v2, s2
	v_add_co_u32_e32 v27, vcc, s1, v1
	v_addc_co_u32_e32 v28, vcc, 0, v2, vcc
	v_lshlrev_b64 v[1:2], 4, v[9:10]
	v_add_u32_e32 v9, s0, v9
	v_add_co_u32_e32 v11, vcc, v27, v1
	v_addc_co_u32_e32 v12, vcc, v28, v2, vcc
	v_lshlrev_b64 v[1:2], 4, v[9:10]
	v_add_u32_e32 v9, s0, v9
	v_add_co_u32_e32 v13, vcc, v27, v1
	v_addc_co_u32_e32 v14, vcc, v28, v2, vcc
	global_load_dwordx4 v[1:4], v[11:12], off
	global_load_dwordx4 v[5:8], v[13:14], off
	v_lshlrev_b64 v[11:12], 4, v[9:10]
	v_add_u32_e32 v9, s0, v9
	v_lshlrev_b64 v[13:14], 4, v[9:10]
	v_add_co_u32_e32 v23, vcc, v27, v11
	v_add_u32_e32 v9, s0, v9
	v_addc_co_u32_e32 v24, vcc, v28, v12, vcc
	v_lshlrev_b64 v[15:16], 4, v[9:10]
	v_add_co_u32_e32 v25, vcc, v27, v13
	v_add_u32_e32 v9, s0, v9
	v_addc_co_u32_e32 v26, vcc, v28, v14, vcc
	v_lshlrev_b64 v[17:18], 4, v[9:10]
	v_add_co_u32_e32 v33, vcc, v27, v15
	v_add_u32_e32 v9, s0, v9
	v_addc_co_u32_e32 v34, vcc, v28, v16, vcc
	v_lshlrev_b64 v[19:20], 4, v[9:10]
	v_add_co_u32_e32 v35, vcc, v27, v17
	v_add_u32_e32 v9, s0, v9
	v_addc_co_u32_e32 v36, vcc, v28, v18, vcc
	v_lshlrev_b64 v[21:22], 4, v[9:10]
	v_add_co_u32_e32 v37, vcc, v27, v19
	global_load_dwordx4 v[9:12], v[23:24], off
	global_load_dwordx4 v[13:16], v[25:26], off
	v_addc_co_u32_e32 v38, vcc, v28, v20, vcc
	v_add_co_u32_e32 v39, vcc, v27, v21
	v_addc_co_u32_e32 v40, vcc, v28, v22, vcc
	global_load_dwordx4 v[17:20], v[33:34], off
	global_load_dwordx4 v[21:24], v[35:36], off
	;; [unrolled: 1-line block ×4, first 2 shown]
	v_lshlrev_b32_e32 v33, 4, v41
	v_lshlrev_b32_e32 v34, 7, v45
	v_or_b32_e32 v35, v34, v33
	v_add3_u32 v33, 0, v34, v33
	v_add_u32_e32 v34, 0, v35
	s_load_dwordx2 s[6:7], s[14:15], 0x8
	v_lshrrev_b32_e32 v48, 3, v0
	s_mov_b32 s12, 0x667f3bcd
	s_mov_b32 s13, 0xbfe6a09e
	s_waitcnt lgkmcnt(0)
	s_movk_i32 s7, 0x380
	v_add_u32_e32 v53, 24, v48
	s_load_dwordx2 s[4:5], s[4:5], 0x58
	v_add_u32_e32 v51, 48, v48
	v_lshlrev_b32_e32 v50, 7, v51
	s_waitcnt vmcnt(7)
	ds_write_b128 v34, v[1:4]
	s_waitcnt vmcnt(6)
	ds_write_b128 v33, v[5:8] offset:16
	s_waitcnt vmcnt(5)
	ds_write_b128 v33, v[9:12] offset:32
	;; [unrolled: 2-line block ×3, first 2 shown]
	v_and_b32_e32 v1, 7, v0
	v_lshlrev_b32_e32 v2, 7, v48
	v_lshlrev_b32_e32 v46, 4, v1
	v_add3_u32 v47, 0, v2, v46
	s_load_dwordx4 s[0:3], s[14:15], 0x10
	s_waitcnt vmcnt(3)
	ds_write_b128 v33, v[17:20] offset:64
	s_waitcnt vmcnt(2)
	ds_write_b128 v33, v[21:24] offset:80
	;; [unrolled: 2-line block ×4, first 2 shown]
	s_waitcnt lgkmcnt(0)
	s_barrier
	ds_read_b128 v[1:4], v47 offset:12288
	ds_read_b128 v[5:8], v47
	ds_read_b128 v[9:12], v47 offset:3072
	ds_read_b128 v[13:16], v47 offset:15360
	;; [unrolled: 1-line block ×4, first 2 shown]
	s_waitcnt lgkmcnt(4)
	v_add_f64 v[29:30], v[5:6], -v[1:2]
	v_add_f64 v[31:32], v[7:8], -v[3:4]
	ds_read_b128 v[1:4], v47 offset:9216
	ds_read_b128 v[25:28], v47 offset:21504
	s_waitcnt lgkmcnt(4)
	v_add_f64 v[13:14], v[9:10], -v[13:14]
	s_waitcnt lgkmcnt(2)
	v_add_f64 v[17:18], v[21:22], -v[17:18]
	v_add_f64 v[19:20], v[23:24], -v[19:20]
	;; [unrolled: 1-line block ×3, first 2 shown]
	s_waitcnt lgkmcnt(0)
	v_add_f64 v[27:28], v[3:4], -v[27:28]
	v_add_f64 v[25:26], v[1:2], -v[25:26]
	v_fma_f64 v[5:6], v[5:6], 2.0, -v[29:30]
	v_fma_f64 v[7:8], v[7:8], 2.0, -v[31:32]
	;; [unrolled: 1-line block ×5, first 2 shown]
	v_add_f64 v[35:36], v[31:32], -v[17:18]
	v_fma_f64 v[11:12], v[11:12], 2.0, -v[15:16]
	v_fma_f64 v[1:2], v[1:2], 2.0, -v[25:26]
	;; [unrolled: 1-line block ×3, first 2 shown]
	v_add_f64 v[33:34], v[29:30], v[19:20]
	v_add_f64 v[17:18], v[13:14], v[27:28]
	v_add_f64 v[19:20], v[15:16], -v[25:26]
	v_add_f64 v[37:38], v[7:8], -v[23:24]
	v_fma_f64 v[27:28], v[31:32], 2.0, -v[35:36]
	v_add_f64 v[31:32], v[5:6], -v[21:22]
	v_add_f64 v[21:22], v[9:10], -v[1:2]
	;; [unrolled: 1-line block ×3, first 2 shown]
	v_fma_f64 v[25:26], v[29:30], 2.0, -v[33:34]
	v_fma_f64 v[29:30], v[13:14], 2.0, -v[17:18]
	;; [unrolled: 1-line block ×4, first 2 shown]
	s_mov_b32 s15, 0x3fe6a09e
	v_fma_f64 v[23:24], v[5:6], 2.0, -v[31:32]
	v_fma_f64 v[3:4], v[9:10], 2.0, -v[21:22]
	;; [unrolled: 1-line block ×3, first 2 shown]
	s_mov_b32 s14, s12
	v_fma_f64 v[7:8], v[29:30], s[12:13], v[25:26]
	v_fma_f64 v[15:16], v[13:14], s[12:13], v[27:28]
	;; [unrolled: 1-line block ×4, first 2 shown]
	v_add_f64 v[1:2], v[31:32], v[1:2]
	v_add_f64 v[9:10], v[23:24], -v[3:4]
	v_add_f64 v[11:12], v[39:40], -v[5:6]
	;; [unrolled: 1-line block ×3, first 2 shown]
	v_fma_f64 v[13:14], v[13:14], s[14:15], v[7:8]
	v_fma_f64 v[15:16], v[29:30], s[12:13], v[15:16]
	;; [unrolled: 1-line block ×4, first 2 shown]
	v_fma_f64 v[17:18], v[23:24], 2.0, -v[9:10]
	v_fma_f64 v[19:20], v[39:40], 2.0, -v[11:12]
	s_barrier
	v_fma_f64 v[21:22], v[25:26], 2.0, -v[13:14]
	v_fma_f64 v[23:24], v[27:28], 2.0, -v[15:16]
	;; [unrolled: 1-line block ×6, first 2 shown]
	v_mad_u32_u24 v33, v48, s7, v47
	ds_write_b128 v33, v[17:20]
	ds_write_b128 v33, v[21:24] offset:128
	ds_write_b128 v33, v[25:28] offset:256
	;; [unrolled: 1-line block ×4, first 2 shown]
	v_lshlrev_b32_e32 v9, 7, v53
	ds_write_b128 v33, v[13:16] offset:640
	ds_write_b128 v33, v[1:4] offset:768
	;; [unrolled: 1-line block ×3, first 2 shown]
	s_waitcnt lgkmcnt(0)
	s_barrier
	v_add3_u32 v49, 0, v9, v46
	ds_read_b128 v[25:28], v47
	ds_read_b128 v[41:44], v47 offset:8192
	ds_read_b128 v[37:40], v47 offset:16384
	;; [unrolled: 1-line block ×3, first 2 shown]
	ds_read_b128 v[21:24], v49
	ds_read_b128 v[29:32], v47 offset:19456
	s_movk_i32 s7, 0x80
	v_cmp_gt_u32_e32 vcc, s7, v0
                                        ; implicit-def: $vgpr11_vgpr12
	s_and_saveexec_b64 s[12:13], vcc
	s_cbranch_execz .LBB0_4
; %bb.3:
	v_add3_u32 v1, 0, v50, v46
	ds_read_b128 v[1:4], v1
	ds_read_b128 v[5:8], v47 offset:14336
	ds_read_b128 v[9:12], v47 offset:22528
.LBB0_4:
	s_or_b64 exec, exec, s[12:13]
	v_bfe_u32 v52, v0, 3, 3
	v_lshlrev_b32_e32 v54, 5, v52
	global_load_dwordx4 v[17:20], v54, s[8:9]
	global_load_dwordx4 v[13:16], v54, s[8:9] offset:16
	s_mov_b32 s12, 0xe8584caa
	s_mov_b32 s13, 0xbfebb67a
	;; [unrolled: 1-line block ×5, first 2 shown]
	s_waitcnt vmcnt(0) lgkmcnt(0)
	s_barrier
	v_mul_f64 v[54:55], v[43:44], v[19:20]
	v_mul_f64 v[56:57], v[41:42], v[19:20]
	;; [unrolled: 1-line block ×4, first 2 shown]
	v_fma_f64 v[41:42], v[41:42], v[17:18], v[54:55]
	v_fma_f64 v[43:44], v[43:44], v[17:18], -v[56:57]
	v_mul_f64 v[54:55], v[35:36], v[19:20]
	v_mul_f64 v[56:57], v[33:34], v[19:20]
	v_fma_f64 v[37:38], v[37:38], v[13:14], v[58:59]
	v_fma_f64 v[39:40], v[39:40], v[13:14], -v[60:61]
	v_mul_f64 v[58:59], v[31:32], v[15:16]
	v_mul_f64 v[60:61], v[29:30], v[15:16]
	v_fma_f64 v[33:34], v[33:34], v[17:18], v[54:55]
	v_fma_f64 v[35:36], v[35:36], v[17:18], -v[56:57]
	v_add_f64 v[54:55], v[41:42], v[37:38]
	v_add_f64 v[56:57], v[43:44], v[39:40]
	v_fma_f64 v[29:30], v[29:30], v[13:14], v[58:59]
	v_fma_f64 v[31:32], v[31:32], v[13:14], -v[60:61]
	v_add_f64 v[58:59], v[25:26], v[41:42]
	v_add_f64 v[60:61], v[27:28], v[43:44]
	v_add_f64 v[43:44], v[43:44], -v[39:40]
	v_fma_f64 v[54:55], v[54:55], -0.5, v[25:26]
	v_fma_f64 v[56:57], v[56:57], -0.5, v[27:28]
	v_add_f64 v[25:26], v[33:34], v[29:30]
	v_add_f64 v[27:28], v[35:36], v[31:32]
	v_fma_f64 v[62:63], v[25:26], -0.5, v[21:22]
	v_fma_f64 v[64:65], v[27:28], -0.5, v[23:24]
	v_add_f64 v[25:26], v[21:22], v[33:34]
	v_add_f64 v[27:28], v[23:24], v[35:36]
	;; [unrolled: 1-line block ×4, first 2 shown]
	v_lshrrev_b32_e32 v39, 6, v0
	v_lshrrev_b32_e32 v40, 3, v53
	v_add_f64 v[37:38], v[41:42], -v[37:38]
	v_mul_u32_u24_e32 v39, 24, v39
	v_mul_u32_u24_e32 v40, 24, v40
	v_or_b32_e32 v39, v39, v52
	v_or_b32_e32 v40, v40, v52
	v_lshlrev_b32_e32 v53, 7, v39
	v_lshlrev_b32_e32 v60, 7, v40
	v_add_f64 v[39:40], v[35:36], -v[31:32]
	v_add_f64 v[58:59], v[33:34], -v[29:30]
	v_add_f64 v[25:26], v[25:26], v[29:30]
	v_add_f64 v[27:28], v[27:28], v[31:32]
	v_fma_f64 v[29:30], v[43:44], s[12:13], v[54:55]
	v_fma_f64 v[31:32], v[37:38], s[14:15], v[56:57]
	;; [unrolled: 1-line block ×8, first 2 shown]
	v_add3_u32 v53, 0, v53, v46
	v_add3_u32 v54, 0, v60, v46
	ds_write_b128 v53, v[21:24]
	ds_write_b128 v53, v[29:32] offset:1024
	ds_write_b128 v53, v[33:36] offset:2048
	ds_write_b128 v54, v[25:28]
	ds_write_b128 v54, v[37:40] offset:1024
	ds_write_b128 v54, v[41:44] offset:2048
	s_and_saveexec_b64 s[18:19], vcc
	s_cbranch_execz .LBB0_6
; %bb.5:
	v_mul_f64 v[21:22], v[5:6], v[19:20]
	v_mul_f64 v[23:24], v[9:10], v[15:16]
	;; [unrolled: 1-line block ×4, first 2 shown]
	v_fma_f64 v[7:8], v[7:8], v[17:18], -v[21:22]
	v_fma_f64 v[11:12], v[11:12], v[13:14], -v[23:24]
	v_fma_f64 v[5:6], v[5:6], v[17:18], v[19:20]
	v_fma_f64 v[9:10], v[9:10], v[13:14], v[15:16]
	v_add_f64 v[19:20], v[3:4], v[7:8]
	v_add_f64 v[13:14], v[7:8], v[11:12]
	v_add_f64 v[21:22], v[7:8], -v[11:12]
	v_add_f64 v[15:16], v[5:6], v[9:10]
	v_add_f64 v[17:18], v[5:6], -v[9:10]
	v_add_f64 v[5:6], v[1:2], v[5:6]
	v_fma_f64 v[13:14], v[13:14], -0.5, v[3:4]
	v_add_f64 v[3:4], v[19:20], v[11:12]
	v_fma_f64 v[15:16], v[15:16], -0.5, v[1:2]
	v_add_f64 v[1:2], v[5:6], v[9:10]
	v_fma_f64 v[11:12], v[17:18], s[14:15], v[13:14]
	v_fma_f64 v[7:8], v[17:18], s[12:13], v[13:14]
	;; [unrolled: 1-line block ×4, first 2 shown]
	v_lshrrev_b32_e32 v13, 3, v51
	v_mul_u32_u24_e32 v13, 24, v13
	v_or_b32_e32 v13, v13, v52
	v_lshlrev_b32_e32 v13, 7, v13
	v_add3_u32 v13, 0, v13, v46
	ds_write_b128 v13, v[1:4]
	ds_write_b128 v13, v[9:12] offset:1024
	ds_write_b128 v13, v[5:8] offset:2048
.LBB0_6:
	s_or_b64 exec, exec, s[18:19]
	v_mul_lo_u16_e32 v1, 11, v48
	v_mov_b32_e32 v2, 24
	v_mul_lo_u16_sdwa v1, v1, v2 dst_sel:DWORD dst_unused:UNUSED_PAD src0_sel:BYTE_1 src1_sel:DWORD
	v_sub_u16_e32 v55, v48, v1
	v_mov_b32_e32 v1, 7
	v_mul_u32_u24_sdwa v1, v55, v1 dst_sel:DWORD dst_unused:UNUSED_PAD src0_sel:BYTE_0 src1_sel:DWORD
	v_lshlrev_b32_e32 v29, 4, v1
	s_waitcnt lgkmcnt(0)
	s_barrier
	global_load_dwordx4 v[1:4], v29, s[8:9] offset:256
	global_load_dwordx4 v[5:8], v29, s[8:9] offset:272
	global_load_dwordx4 v[9:12], v29, s[8:9] offset:288
	global_load_dwordx4 v[13:16], v29, s[8:9] offset:304
	global_load_dwordx4 v[17:20], v29, s[8:9] offset:336
	global_load_dwordx4 v[21:24], v29, s[8:9] offset:320
	global_load_dwordx4 v[25:28], v29, s[8:9] offset:352
	ds_read_b128 v[29:32], v47
	ds_read_b128 v[33:36], v49
	v_and_b32_e32 v37, 0xf8, v0
	v_sub_u32_e32 v45, v0, v45
	v_lshlrev_b32_e32 v0, 4, v37
	v_add3_u32 v38, 0, v50, v46
	v_add3_u32 v47, 0, v0, v46
	ds_read_b128 v[37:40], v38
	ds_read_b128 v[41:44], v47 offset:9216
	v_add_u32_sdwa v45, v45, v55 dst_sel:DWORD dst_unused:UNUSED_PAD src0_sel:DWORD src1_sel:BYTE_0
	s_mul_i32 s1, s1, s16
	s_mul_hi_u32 s7, s0, s16
	s_mul_i32 s12, s0, s16
	s_mul_i32 s8, s3, s17
	s_mul_hi_u32 s14, s2, s17
	s_mul_i32 s0, s2, s17
	s_mov_b32 s2, 0x667f3bcd
	s_mov_b32 s3, 0xbfe6a09e
	;; [unrolled: 1-line block ×3, first 2 shown]
	s_add_i32 s13, s7, s1
	s_add_i32 s1, s14, s8
	s_mov_b32 s8, s2
	s_lshl_b64 s[12:13], s[12:13], 4
	s_add_u32 s7, s4, s12
	s_mul_i32 s15, s6, 24
	v_mov_b32_e32 v48, 0
	s_waitcnt vmcnt(6) lgkmcnt(2)
	v_mul_f64 v[49:50], v[35:36], v[3:4]
	v_mul_f64 v[3:4], v[33:34], v[3:4]
	s_waitcnt vmcnt(5) lgkmcnt(1)
	v_mul_f64 v[51:52], v[39:40], v[7:8]
	v_mul_f64 v[7:8], v[37:38], v[7:8]
	;; [unrolled: 3-line block ×3, first 2 shown]
	v_fma_f64 v[49:50], v[33:34], v[1:2], v[49:50]
	v_fma_f64 v[53:54], v[35:36], v[1:2], -v[3:4]
	ds_read_b128 v[0:3], v47 offset:12288
	ds_read_b128 v[33:36], v47 offset:15360
	v_fma_f64 v[57:58], v[39:40], v[5:6], -v[7:8]
	v_fma_f64 v[41:42], v[41:42], v[9:10], v[55:56]
	v_fma_f64 v[8:9], v[43:44], v[9:10], -v[11:12]
	s_waitcnt vmcnt(3) lgkmcnt(1)
	v_mul_f64 v[10:11], v[2:3], v[15:16]
	v_mul_f64 v[15:16], v[0:1], v[15:16]
	v_fma_f64 v[51:52], v[37:38], v[5:6], v[51:52]
	ds_read_b128 v[4:7], v47 offset:18432
	ds_read_b128 v[37:40], v47 offset:21504
	v_mul_lo_u32 v47, v45, s6
	s_addc_u32 s6, s5, s13
	s_lshl_b64 s[4:5], s[10:11], 4
	s_waitcnt vmcnt(2) lgkmcnt(1)
	v_mul_f64 v[43:44], v[6:7], v[19:20]
	v_mul_f64 v[19:20], v[4:5], v[19:20]
	v_fma_f64 v[0:1], v[0:1], v[13:14], v[10:11]
	v_fma_f64 v[2:3], v[2:3], v[13:14], -v[15:16]
	s_waitcnt vmcnt(1)
	v_mul_f64 v[10:11], v[35:36], v[23:24]
	v_mul_f64 v[12:13], v[33:34], v[23:24]
	s_waitcnt vmcnt(0) lgkmcnt(0)
	v_mul_f64 v[14:15], v[39:40], v[27:28]
	v_mul_f64 v[23:24], v[37:38], v[27:28]
	v_fma_f64 v[4:5], v[4:5], v[17:18], v[43:44]
	v_fma_f64 v[6:7], v[6:7], v[17:18], -v[19:20]
	v_add_f64 v[0:1], v[29:30], -v[0:1]
	v_add_f64 v[2:3], v[31:32], -v[2:3]
	v_fma_f64 v[10:11], v[33:34], v[21:22], v[10:11]
	v_fma_f64 v[12:13], v[35:36], v[21:22], -v[12:13]
	v_fma_f64 v[14:15], v[37:38], v[25:26], v[14:15]
	v_fma_f64 v[16:17], v[39:40], v[25:26], -v[23:24]
	v_add_f64 v[4:5], v[51:52], -v[4:5]
	v_add_f64 v[6:7], v[57:58], -v[6:7]
	v_fma_f64 v[18:19], v[29:30], 2.0, -v[0:1]
	v_fma_f64 v[20:21], v[31:32], 2.0, -v[2:3]
	v_add_f64 v[10:11], v[49:50], -v[10:11]
	v_add_f64 v[12:13], v[53:54], -v[12:13]
	;; [unrolled: 1-line block ×4, first 2 shown]
	v_fma_f64 v[22:23], v[51:52], 2.0, -v[4:5]
	v_fma_f64 v[24:25], v[57:58], 2.0, -v[6:7]
	v_add_f64 v[35:36], v[0:1], v[6:7]
	v_add_f64 v[37:38], v[2:3], -v[4:5]
	v_fma_f64 v[29:30], v[49:50], 2.0, -v[10:11]
	v_fma_f64 v[31:32], v[53:54], 2.0, -v[12:13]
	;; [unrolled: 1-line block ×4, first 2 shown]
	v_add_f64 v[16:17], v[10:11], v[16:17]
	v_add_f64 v[14:15], v[12:13], -v[14:15]
	v_add_f64 v[22:23], v[18:19], -v[22:23]
	;; [unrolled: 1-line block ×3, first 2 shown]
	v_fma_f64 v[39:40], v[2:3], 2.0, -v[37:38]
	s_add_u32 s4, s7, s4
	v_add_f64 v[6:7], v[29:30], -v[33:34]
	v_add_f64 v[4:5], v[31:32], -v[8:9]
	v_fma_f64 v[33:34], v[0:1], 2.0, -v[35:36]
	v_fma_f64 v[41:42], v[10:11], 2.0, -v[16:17]
	;; [unrolled: 1-line block ×5, first 2 shown]
	v_fma_f64 v[8:9], v[16:17], s[8:9], v[35:36]
	v_fma_f64 v[0:1], v[29:30], 2.0, -v[6:7]
	v_fma_f64 v[2:3], v[31:32], 2.0, -v[4:5]
	v_fma_f64 v[10:11], v[14:15], s[8:9], v[37:38]
	v_fma_f64 v[29:30], v[41:42], s[2:3], v[33:34]
	;; [unrolled: 1-line block ×3, first 2 shown]
	v_add_f64 v[4:5], v[22:23], v[4:5]
	v_add_f64 v[6:7], v[24:25], -v[6:7]
	v_fma_f64 v[8:9], v[14:15], s[8:9], v[8:9]
	v_add_f64 v[0:1], v[18:19], -v[0:1]
	v_add_f64 v[2:3], v[20:21], -v[2:3]
	s_addc_u32 s5, s6, s5
	v_fma_f64 v[12:13], v[12:13], s[8:9], v[29:30]
	v_fma_f64 v[14:15], v[41:42], s[2:3], v[31:32]
	s_lshl_b64 s[0:1], s[0:1], 4
	s_add_u32 s0, s0, s4
	s_addc_u32 s1, s1, s5
	v_lshlrev_b64 v[27:28], 4, v[47:48]
	v_mov_b32_e32 v45, s1
	v_add_co_u32_e32 v46, vcc, s0, v46
	v_fma_f64 v[10:11], v[16:17], s[2:3], v[10:11]
	v_fma_f64 v[16:17], v[18:19], 2.0, -v[0:1]
	v_fma_f64 v[18:19], v[20:21], 2.0, -v[2:3]
	v_addc_co_u32_e32 v45, vcc, 0, v45, vcc
	v_add_co_u32_e32 v41, vcc, v46, v27
	v_fma_f64 v[20:21], v[22:23], 2.0, -v[4:5]
	v_fma_f64 v[22:23], v[24:25], 2.0, -v[6:7]
	;; [unrolled: 1-line block ×4, first 2 shown]
	v_add_u32_e32 v47, s15, v47
	v_lshlrev_b64 v[43:44], 4, v[47:48]
	v_addc_co_u32_e32 v42, vcc, v45, v28, vcc
	global_store_dwordx4 v[41:42], v[16:19], off
	v_add_u32_e32 v47, s15, v47
	v_add_co_u32_e32 v16, vcc, v46, v43
	v_addc_co_u32_e32 v17, vcc, v45, v44, vcc
	v_fma_f64 v[28:29], v[35:36], 2.0, -v[8:9]
	v_fma_f64 v[30:31], v[37:38], 2.0, -v[10:11]
	global_store_dwordx4 v[16:17], v[24:27], off
	v_lshlrev_b64 v[16:17], 4, v[47:48]
	v_add_u32_e32 v47, s15, v47
	v_add_co_u32_e32 v16, vcc, v46, v16
	v_addc_co_u32_e32 v17, vcc, v45, v17, vcc
	global_store_dwordx4 v[16:17], v[20:23], off
	v_lshlrev_b64 v[16:17], 4, v[47:48]
	v_add_u32_e32 v47, s15, v47
	v_add_co_u32_e32 v16, vcc, v46, v16
	v_addc_co_u32_e32 v17, vcc, v45, v17, vcc
	;; [unrolled: 5-line block ×3, first 2 shown]
	global_store_dwordx4 v[16:17], v[0:3], off
	s_nop 0
	v_lshlrev_b64 v[0:1], 4, v[47:48]
	v_add_u32_e32 v47, s15, v47
	v_add_co_u32_e32 v0, vcc, v46, v0
	v_addc_co_u32_e32 v1, vcc, v45, v1, vcc
	global_store_dwordx4 v[0:1], v[12:15], off
	v_lshlrev_b64 v[0:1], 4, v[47:48]
	v_add_u32_e32 v47, s15, v47
	v_add_co_u32_e32 v0, vcc, v46, v0
	v_addc_co_u32_e32 v1, vcc, v45, v1, vcc
	global_store_dwordx4 v[0:1], v[4:7], off
	v_lshlrev_b64 v[0:1], 4, v[47:48]
	v_add_co_u32_e32 v0, vcc, v46, v0
	v_addc_co_u32_e32 v1, vcc, v45, v1, vcc
	global_store_dwordx4 v[0:1], v[8:11], off
	s_endpgm
	.section	.rodata,"a",@progbits
	.p2align	6, 0x0
	.amdhsa_kernel fft_rtc_back_len192_factors_8_3_8_wgs_192_tpt_24_dim3_dp_op_CI_CI_unitstride_sbrc_aligned_dirReg
		.amdhsa_group_segment_fixed_size 0
		.amdhsa_private_segment_fixed_size 0
		.amdhsa_kernarg_size 96
		.amdhsa_user_sgpr_count 6
		.amdhsa_user_sgpr_private_segment_buffer 1
		.amdhsa_user_sgpr_dispatch_ptr 0
		.amdhsa_user_sgpr_queue_ptr 0
		.amdhsa_user_sgpr_kernarg_segment_ptr 1
		.amdhsa_user_sgpr_dispatch_id 0
		.amdhsa_user_sgpr_flat_scratch_init 0
		.amdhsa_user_sgpr_private_segment_size 0
		.amdhsa_uses_dynamic_stack 0
		.amdhsa_system_sgpr_private_segment_wavefront_offset 0
		.amdhsa_system_sgpr_workgroup_id_x 1
		.amdhsa_system_sgpr_workgroup_id_y 0
		.amdhsa_system_sgpr_workgroup_id_z 0
		.amdhsa_system_sgpr_workgroup_info 0
		.amdhsa_system_vgpr_workitem_id 0
		.amdhsa_next_free_vgpr 66
		.amdhsa_next_free_sgpr 28
		.amdhsa_reserve_vcc 1
		.amdhsa_reserve_flat_scratch 0
		.amdhsa_float_round_mode_32 0
		.amdhsa_float_round_mode_16_64 0
		.amdhsa_float_denorm_mode_32 3
		.amdhsa_float_denorm_mode_16_64 3
		.amdhsa_dx10_clamp 1
		.amdhsa_ieee_mode 1
		.amdhsa_fp16_overflow 0
		.amdhsa_exception_fp_ieee_invalid_op 0
		.amdhsa_exception_fp_denorm_src 0
		.amdhsa_exception_fp_ieee_div_zero 0
		.amdhsa_exception_fp_ieee_overflow 0
		.amdhsa_exception_fp_ieee_underflow 0
		.amdhsa_exception_fp_ieee_inexact 0
		.amdhsa_exception_int_div_zero 0
	.end_amdhsa_kernel
	.text
.Lfunc_end0:
	.size	fft_rtc_back_len192_factors_8_3_8_wgs_192_tpt_24_dim3_dp_op_CI_CI_unitstride_sbrc_aligned_dirReg, .Lfunc_end0-fft_rtc_back_len192_factors_8_3_8_wgs_192_tpt_24_dim3_dp_op_CI_CI_unitstride_sbrc_aligned_dirReg
                                        ; -- End function
	.section	.AMDGPU.csdata,"",@progbits
; Kernel info:
; codeLenInByte = 3592
; NumSgprs: 32
; NumVgprs: 66
; ScratchSize: 0
; MemoryBound: 0
; FloatMode: 240
; IeeeMode: 1
; LDSByteSize: 0 bytes/workgroup (compile time only)
; SGPRBlocks: 3
; VGPRBlocks: 16
; NumSGPRsForWavesPerEU: 32
; NumVGPRsForWavesPerEU: 66
; Occupancy: 3
; WaveLimiterHint : 1
; COMPUTE_PGM_RSRC2:SCRATCH_EN: 0
; COMPUTE_PGM_RSRC2:USER_SGPR: 6
; COMPUTE_PGM_RSRC2:TRAP_HANDLER: 0
; COMPUTE_PGM_RSRC2:TGID_X_EN: 1
; COMPUTE_PGM_RSRC2:TGID_Y_EN: 0
; COMPUTE_PGM_RSRC2:TGID_Z_EN: 0
; COMPUTE_PGM_RSRC2:TIDIG_COMP_CNT: 0
	.type	__hip_cuid_871ad3e36c434139,@object ; @__hip_cuid_871ad3e36c434139
	.section	.bss,"aw",@nobits
	.globl	__hip_cuid_871ad3e36c434139
__hip_cuid_871ad3e36c434139:
	.byte	0                               ; 0x0
	.size	__hip_cuid_871ad3e36c434139, 1

	.ident	"AMD clang version 19.0.0git (https://github.com/RadeonOpenCompute/llvm-project roc-6.4.0 25133 c7fe45cf4b819c5991fe208aaa96edf142730f1d)"
	.section	".note.GNU-stack","",@progbits
	.addrsig
	.addrsig_sym __hip_cuid_871ad3e36c434139
	.amdgpu_metadata
---
amdhsa.kernels:
  - .args:
      - .actual_access:  read_only
        .address_space:  global
        .offset:         0
        .size:           8
        .value_kind:     global_buffer
      - .actual_access:  read_only
        .address_space:  global
        .offset:         8
        .size:           8
        .value_kind:     global_buffer
      - .actual_access:  read_only
        .address_space:  global
        .offset:         16
        .size:           8
        .value_kind:     global_buffer
      - .actual_access:  read_only
        .address_space:  global
        .offset:         24
        .size:           8
        .value_kind:     global_buffer
      - .offset:         32
        .size:           8
        .value_kind:     by_value
      - .actual_access:  read_only
        .address_space:  global
        .offset:         40
        .size:           8
        .value_kind:     global_buffer
      - .actual_access:  read_only
        .address_space:  global
        .offset:         48
        .size:           8
        .value_kind:     global_buffer
      - .offset:         56
        .size:           4
        .value_kind:     by_value
      - .actual_access:  read_only
        .address_space:  global
        .offset:         64
        .size:           8
        .value_kind:     global_buffer
      - .actual_access:  read_only
        .address_space:  global
        .offset:         72
        .size:           8
        .value_kind:     global_buffer
      - .actual_access:  read_only
        .address_space:  global
        .offset:         80
        .size:           8
        .value_kind:     global_buffer
      - .actual_access:  write_only
        .address_space:  global
        .offset:         88
        .size:           8
        .value_kind:     global_buffer
    .group_segment_fixed_size: 0
    .kernarg_segment_align: 8
    .kernarg_segment_size: 96
    .language:       OpenCL C
    .language_version:
      - 2
      - 0
    .max_flat_workgroup_size: 192
    .name:           fft_rtc_back_len192_factors_8_3_8_wgs_192_tpt_24_dim3_dp_op_CI_CI_unitstride_sbrc_aligned_dirReg
    .private_segment_fixed_size: 0
    .sgpr_count:     32
    .sgpr_spill_count: 0
    .symbol:         fft_rtc_back_len192_factors_8_3_8_wgs_192_tpt_24_dim3_dp_op_CI_CI_unitstride_sbrc_aligned_dirReg.kd
    .uniform_work_group_size: 1
    .uses_dynamic_stack: false
    .vgpr_count:     66
    .vgpr_spill_count: 0
    .wavefront_size: 64
amdhsa.target:   amdgcn-amd-amdhsa--gfx906
amdhsa.version:
  - 1
  - 2
...

	.end_amdgpu_metadata
